;; amdgpu-corpus repo=ROCm/rocFFT kind=compiled arch=gfx1030 opt=O3
	.text
	.amdgcn_target "amdgcn-amd-amdhsa--gfx1030"
	.amdhsa_code_object_version 6
	.protected	fft_rtc_fwd_len864_factors_3_6_16_3_wgs_54_tpt_54_halfLds_dp_ip_CI_sbrr_dirReg ; -- Begin function fft_rtc_fwd_len864_factors_3_6_16_3_wgs_54_tpt_54_halfLds_dp_ip_CI_sbrr_dirReg
	.globl	fft_rtc_fwd_len864_factors_3_6_16_3_wgs_54_tpt_54_halfLds_dp_ip_CI_sbrr_dirReg
	.p2align	8
	.type	fft_rtc_fwd_len864_factors_3_6_16_3_wgs_54_tpt_54_halfLds_dp_ip_CI_sbrr_dirReg,@function
fft_rtc_fwd_len864_factors_3_6_16_3_wgs_54_tpt_54_halfLds_dp_ip_CI_sbrr_dirReg: ; @fft_rtc_fwd_len864_factors_3_6_16_3_wgs_54_tpt_54_halfLds_dp_ip_CI_sbrr_dirReg
; %bb.0:
	s_clause 0x2
	s_load_dwordx2 s[14:15], s[4:5], 0x18
	s_load_dwordx4 s[8:11], s[4:5], 0x0
	s_load_dwordx2 s[12:13], s[4:5], 0x50
	v_mul_u32_u24_e32 v1, 0x4be, v0
	v_mov_b32_e32 v3, 0
	v_add_nc_u32_sdwa v5, s6, v1 dst_sel:DWORD dst_unused:UNUSED_PAD src0_sel:DWORD src1_sel:WORD_1
	v_mov_b32_e32 v1, 0
	v_mov_b32_e32 v6, v3
	v_mov_b32_e32 v2, 0
	s_waitcnt lgkmcnt(0)
	s_load_dwordx2 s[2:3], s[14:15], 0x0
	v_cmp_lt_u64_e64 s0, s[10:11], 2
	s_and_b32 vcc_lo, exec_lo, s0
	s_cbranch_vccnz .LBB0_8
; %bb.1:
	s_load_dwordx2 s[0:1], s[4:5], 0x10
	v_mov_b32_e32 v1, 0
	s_add_u32 s6, s14, 8
	v_mov_b32_e32 v2, 0
	s_addc_u32 s7, s15, 0
	s_mov_b64 s[18:19], 1
	s_waitcnt lgkmcnt(0)
	s_add_u32 s16, s0, 8
	s_addc_u32 s17, s1, 0
.LBB0_2:                                ; =>This Inner Loop Header: Depth=1
	s_load_dwordx2 s[20:21], s[16:17], 0x0
                                        ; implicit-def: $vgpr7_vgpr8
	s_mov_b32 s0, exec_lo
	s_waitcnt lgkmcnt(0)
	v_or_b32_e32 v4, s21, v6
	v_cmpx_ne_u64_e32 0, v[3:4]
	s_xor_b32 s1, exec_lo, s0
	s_cbranch_execz .LBB0_4
; %bb.3:                                ;   in Loop: Header=BB0_2 Depth=1
	v_cvt_f32_u32_e32 v4, s20
	v_cvt_f32_u32_e32 v7, s21
	s_sub_u32 s0, 0, s20
	s_subb_u32 s22, 0, s21
	v_fmac_f32_e32 v4, 0x4f800000, v7
	v_rcp_f32_e32 v4, v4
	v_mul_f32_e32 v4, 0x5f7ffffc, v4
	v_mul_f32_e32 v7, 0x2f800000, v4
	v_trunc_f32_e32 v7, v7
	v_fmac_f32_e32 v4, 0xcf800000, v7
	v_cvt_u32_f32_e32 v7, v7
	v_cvt_u32_f32_e32 v4, v4
	v_mul_lo_u32 v8, s0, v7
	v_mul_hi_u32 v9, s0, v4
	v_mul_lo_u32 v10, s22, v4
	v_add_nc_u32_e32 v8, v9, v8
	v_mul_lo_u32 v9, s0, v4
	v_add_nc_u32_e32 v8, v8, v10
	v_mul_hi_u32 v10, v4, v9
	v_mul_lo_u32 v11, v4, v8
	v_mul_hi_u32 v12, v4, v8
	v_mul_hi_u32 v13, v7, v9
	v_mul_lo_u32 v9, v7, v9
	v_mul_hi_u32 v14, v7, v8
	v_mul_lo_u32 v8, v7, v8
	v_add_co_u32 v10, vcc_lo, v10, v11
	v_add_co_ci_u32_e32 v11, vcc_lo, 0, v12, vcc_lo
	v_add_co_u32 v9, vcc_lo, v10, v9
	v_add_co_ci_u32_e32 v9, vcc_lo, v11, v13, vcc_lo
	v_add_co_ci_u32_e32 v10, vcc_lo, 0, v14, vcc_lo
	v_add_co_u32 v8, vcc_lo, v9, v8
	v_add_co_ci_u32_e32 v9, vcc_lo, 0, v10, vcc_lo
	v_add_co_u32 v4, vcc_lo, v4, v8
	v_add_co_ci_u32_e32 v7, vcc_lo, v7, v9, vcc_lo
	v_mul_hi_u32 v8, s0, v4
	v_mul_lo_u32 v10, s22, v4
	v_mul_lo_u32 v9, s0, v7
	v_add_nc_u32_e32 v8, v8, v9
	v_mul_lo_u32 v9, s0, v4
	v_add_nc_u32_e32 v8, v8, v10
	v_mul_hi_u32 v10, v4, v9
	v_mul_lo_u32 v11, v4, v8
	v_mul_hi_u32 v12, v4, v8
	v_mul_hi_u32 v13, v7, v9
	v_mul_lo_u32 v9, v7, v9
	v_mul_hi_u32 v14, v7, v8
	v_mul_lo_u32 v8, v7, v8
	v_add_co_u32 v10, vcc_lo, v10, v11
	v_add_co_ci_u32_e32 v11, vcc_lo, 0, v12, vcc_lo
	v_add_co_u32 v9, vcc_lo, v10, v9
	v_add_co_ci_u32_e32 v9, vcc_lo, v11, v13, vcc_lo
	v_add_co_ci_u32_e32 v10, vcc_lo, 0, v14, vcc_lo
	v_add_co_u32 v8, vcc_lo, v9, v8
	v_add_co_ci_u32_e32 v9, vcc_lo, 0, v10, vcc_lo
	v_add_co_u32 v4, vcc_lo, v4, v8
	v_add_co_ci_u32_e32 v11, vcc_lo, v7, v9, vcc_lo
	v_mul_hi_u32 v13, v5, v4
	v_mad_u64_u32 v[9:10], null, v6, v4, 0
	v_mad_u64_u32 v[7:8], null, v5, v11, 0
	;; [unrolled: 1-line block ×3, first 2 shown]
	v_add_co_u32 v4, vcc_lo, v13, v7
	v_add_co_ci_u32_e32 v7, vcc_lo, 0, v8, vcc_lo
	v_add_co_u32 v4, vcc_lo, v4, v9
	v_add_co_ci_u32_e32 v4, vcc_lo, v7, v10, vcc_lo
	v_add_co_ci_u32_e32 v7, vcc_lo, 0, v12, vcc_lo
	v_add_co_u32 v4, vcc_lo, v4, v11
	v_add_co_ci_u32_e32 v9, vcc_lo, 0, v7, vcc_lo
	v_mul_lo_u32 v10, s21, v4
	v_mad_u64_u32 v[7:8], null, s20, v4, 0
	v_mul_lo_u32 v11, s20, v9
	v_sub_co_u32 v7, vcc_lo, v5, v7
	v_add3_u32 v8, v8, v11, v10
	v_sub_nc_u32_e32 v10, v6, v8
	v_subrev_co_ci_u32_e64 v10, s0, s21, v10, vcc_lo
	v_add_co_u32 v11, s0, v4, 2
	v_add_co_ci_u32_e64 v12, s0, 0, v9, s0
	v_sub_co_u32 v13, s0, v7, s20
	v_sub_co_ci_u32_e32 v8, vcc_lo, v6, v8, vcc_lo
	v_subrev_co_ci_u32_e64 v10, s0, 0, v10, s0
	v_cmp_le_u32_e32 vcc_lo, s20, v13
	v_cmp_eq_u32_e64 s0, s21, v8
	v_cndmask_b32_e64 v13, 0, -1, vcc_lo
	v_cmp_le_u32_e32 vcc_lo, s21, v10
	v_cndmask_b32_e64 v14, 0, -1, vcc_lo
	v_cmp_le_u32_e32 vcc_lo, s20, v7
	;; [unrolled: 2-line block ×3, first 2 shown]
	v_cndmask_b32_e64 v15, 0, -1, vcc_lo
	v_cmp_eq_u32_e32 vcc_lo, s21, v10
	v_cndmask_b32_e64 v7, v15, v7, s0
	v_cndmask_b32_e32 v10, v14, v13, vcc_lo
	v_add_co_u32 v13, vcc_lo, v4, 1
	v_add_co_ci_u32_e32 v14, vcc_lo, 0, v9, vcc_lo
	v_cmp_ne_u32_e32 vcc_lo, 0, v10
	v_cndmask_b32_e32 v8, v14, v12, vcc_lo
	v_cndmask_b32_e32 v10, v13, v11, vcc_lo
	v_cmp_ne_u32_e32 vcc_lo, 0, v7
	v_cndmask_b32_e32 v8, v9, v8, vcc_lo
	v_cndmask_b32_e32 v7, v4, v10, vcc_lo
.LBB0_4:                                ;   in Loop: Header=BB0_2 Depth=1
	s_andn2_saveexec_b32 s0, s1
	s_cbranch_execz .LBB0_6
; %bb.5:                                ;   in Loop: Header=BB0_2 Depth=1
	v_cvt_f32_u32_e32 v4, s20
	s_sub_i32 s1, 0, s20
	v_rcp_iflag_f32_e32 v4, v4
	v_mul_f32_e32 v4, 0x4f7ffffe, v4
	v_cvt_u32_f32_e32 v4, v4
	v_mul_lo_u32 v7, s1, v4
	v_mul_hi_u32 v7, v4, v7
	v_add_nc_u32_e32 v4, v4, v7
	v_mul_hi_u32 v4, v5, v4
	v_mul_lo_u32 v7, v4, s20
	v_add_nc_u32_e32 v8, 1, v4
	v_sub_nc_u32_e32 v7, v5, v7
	v_subrev_nc_u32_e32 v9, s20, v7
	v_cmp_le_u32_e32 vcc_lo, s20, v7
	v_cndmask_b32_e32 v7, v7, v9, vcc_lo
	v_cndmask_b32_e32 v4, v4, v8, vcc_lo
	v_cmp_le_u32_e32 vcc_lo, s20, v7
	v_add_nc_u32_e32 v8, 1, v4
	v_cndmask_b32_e32 v7, v4, v8, vcc_lo
	v_mov_b32_e32 v8, v3
.LBB0_6:                                ;   in Loop: Header=BB0_2 Depth=1
	s_or_b32 exec_lo, exec_lo, s0
	s_load_dwordx2 s[0:1], s[6:7], 0x0
	v_mul_lo_u32 v4, v8, s20
	v_mul_lo_u32 v11, v7, s21
	v_mad_u64_u32 v[9:10], null, v7, s20, 0
	s_add_u32 s18, s18, 1
	s_addc_u32 s19, s19, 0
	s_add_u32 s6, s6, 8
	s_addc_u32 s7, s7, 0
	;; [unrolled: 2-line block ×3, first 2 shown]
	v_add3_u32 v4, v10, v11, v4
	v_sub_co_u32 v5, vcc_lo, v5, v9
	v_sub_co_ci_u32_e32 v4, vcc_lo, v6, v4, vcc_lo
	s_waitcnt lgkmcnt(0)
	v_mul_lo_u32 v6, s1, v5
	v_mul_lo_u32 v4, s0, v4
	v_mad_u64_u32 v[1:2], null, s0, v5, v[1:2]
	v_cmp_ge_u64_e64 s0, s[18:19], s[10:11]
	s_and_b32 vcc_lo, exec_lo, s0
	v_add3_u32 v2, v6, v2, v4
	s_cbranch_vccnz .LBB0_9
; %bb.7:                                ;   in Loop: Header=BB0_2 Depth=1
	v_mov_b32_e32 v5, v7
	v_mov_b32_e32 v6, v8
	s_branch .LBB0_2
.LBB0_8:
	v_mov_b32_e32 v8, v6
	v_mov_b32_e32 v7, v5
.LBB0_9:
	s_lshl_b64 s[0:1], s[10:11], 3
	v_mul_hi_u32 v3, 0x4bda130, v0
	s_add_u32 s0, s14, s0
	s_addc_u32 s1, s15, s1
	s_load_dwordx2 s[4:5], s[4:5], 0x20
	s_load_dwordx2 s[0:1], s[0:1], 0x0
                                        ; implicit-def: $vgpr116
                                        ; implicit-def: $vgpr117
                                        ; implicit-def: $vgpr118
                                        ; implicit-def: $vgpr119
	v_mul_u32_u24_e32 v3, 54, v3
	v_sub_nc_u32_e32 v102, v0, v3
	v_add_nc_u32_e32 v106, 54, v102
	v_add_nc_u32_e32 v104, 0x6c, v102
	;; [unrolled: 1-line block ×4, first 2 shown]
	s_waitcnt lgkmcnt(0)
	v_cmp_gt_u64_e32 vcc_lo, s[4:5], v[7:8]
	v_mul_lo_u32 v3, s0, v8
	v_mul_lo_u32 v4, s1, v7
	v_mad_u64_u32 v[0:1], null, s0, v7, v[1:2]
	v_cmp_le_u64_e64 s0, s[4:5], v[7:8]
	v_add3_u32 v1, v4, v1, v3
	s_and_saveexec_b32 s1, s0
	s_xor_b32 s0, exec_lo, s1
; %bb.10:
	v_add_nc_u32_e32 v116, 54, v102
	v_add_nc_u32_e32 v117, 0x6c, v102
	;; [unrolled: 1-line block ×4, first 2 shown]
; %bb.11:
	s_or_saveexec_b32 s1, s0
	v_lshlrev_b64 v[100:101], 4, v[0:1]
	v_add_nc_u32_e32 v113, 0x120, v102
	v_or_b32_e32 v114, 0x240, v102
	v_add_nc_u32_e32 v111, 0x156, v102
	v_add_nc_u32_e32 v112, 0x276, v102
	;; [unrolled: 1-line block ×6, first 2 shown]
                                        ; implicit-def: $vgpr34_vgpr35
                                        ; implicit-def: $vgpr30_vgpr31
                                        ; implicit-def: $vgpr38_vgpr39
                                        ; implicit-def: $vgpr54_vgpr55
                                        ; implicit-def: $vgpr42_vgpr43
                                        ; implicit-def: $vgpr66_vgpr67
                                        ; implicit-def: $vgpr50_vgpr51
                                        ; implicit-def: $vgpr70_vgpr71
                                        ; implicit-def: $vgpr58_vgpr59
                                        ; implicit-def: $vgpr74_vgpr75
                                        ; implicit-def: $vgpr78_vgpr79
                                        ; implicit-def: $vgpr62_vgpr63
                                        ; implicit-def: $vgpr90_vgpr91
                                        ; implicit-def: $vgpr98_vgpr99
                                        ; implicit-def: $vgpr94_vgpr95
                                        ; implicit-def: $vgpr86_vgpr87
                                        ; implicit-def: $vgpr82_vgpr83
                                        ; implicit-def: $vgpr46_vgpr47
	s_xor_b32 exec_lo, exec_lo, s1
	s_cbranch_execz .LBB0_15
; %bb.12:
	v_mad_u64_u32 v[2:3], null, s2, v102, 0
	v_mad_u64_u32 v[4:5], null, s2, v113, 0
	;; [unrolled: 1-line block ×4, first 2 shown]
	v_mov_b32_e32 v0, v3
	v_add_nc_u32_e32 v30, 0x1f8, v102
	v_mov_b32_e32 v1, v5
	s_mov_b32 s4, exec_lo
                                        ; implicit-def: $vgpr92_vgpr93
                                        ; implicit-def: $vgpr96_vgpr97
                                        ; implicit-def: $vgpr88_vgpr89
	v_mad_u64_u32 v[42:43], null, s2, v30, 0
	v_mad_u64_u32 v[8:9], null, s3, v102, v[0:1]
	;; [unrolled: 1-line block ×3, first 2 shown]
	v_mov_b32_e32 v0, v7
	v_mad_u64_u32 v[11:12], null, s3, v113, v[1:2]
	v_mov_b32_e32 v3, v8
	v_mad_u64_u32 v[12:13], null, s3, v114, v[0:1]
	;; [unrolled: 2-line block ×3, first 2 shown]
	v_mov_b32_e32 v5, v11
	v_lshlrev_b64 v[2:3], 4, v[2:3]
	v_mad_u64_u32 v[10:11], null, s3, v106, v[8:9]
	v_mov_b32_e32 v7, v12
	v_mad_u64_u32 v[11:12], null, s2, v112, 0
	v_mov_b32_e32 v8, v14
	v_add_co_u32 v0, s0, s12, v100
	v_add_co_ci_u32_e64 v1, s0, s13, v101, s0
	v_mad_u64_u32 v[14:15], null, s3, v111, v[8:9]
	v_lshlrev_b64 v[8:9], 4, v[9:10]
	v_mov_b32_e32 v10, v12
	v_mad_u64_u32 v[15:16], null, s2, v104, 0
	v_lshlrev_b64 v[4:5], 4, v[4:5]
	v_add_co_u32 v2, s0, v0, v2
	v_mad_u64_u32 v[17:18], null, s3, v112, v[10:11]
	v_mad_u64_u32 v[18:19], null, s2, v109, 0
	v_mov_b32_e32 v10, v16
	v_lshlrev_b64 v[6:7], 4, v[6:7]
	v_add_co_ci_u32_e64 v3, s0, v1, v3, s0
	v_add_co_u32 v4, s0, v0, v4
	v_mov_b32_e32 v16, v19
	v_mad_u64_u32 v[19:20], null, s3, v104, v[10:11]
	v_mad_u64_u32 v[20:21], null, s2, v110, 0
	v_add_co_ci_u32_e64 v5, s0, v1, v5, s0
	v_add_co_u32 v6, s0, v0, v6
	v_lshlrev_b64 v[13:14], 4, v[13:14]
	v_mov_b32_e32 v12, v17
	v_add_co_ci_u32_e64 v7, s0, v1, v7, s0
	v_add_co_u32 v8, s0, v0, v8
	v_mad_u64_u32 v[22:23], null, s3, v109, v[16:17]
	v_add_co_ci_u32_e64 v9, s0, v1, v9, s0
	v_add_co_u32 v13, s0, v0, v13
	v_lshlrev_b64 v[10:11], 4, v[11:12]
	v_mov_b32_e32 v12, v21
	v_mov_b32_e32 v16, v19
	;; [unrolled: 1-line block ×3, first 2 shown]
	v_mad_u64_u32 v[22:23], null, s2, v103, 0
	v_mad_u64_u32 v[24:25], null, s3, v110, v[12:13]
	v_lshlrev_b64 v[17:18], 4, v[18:19]
	v_lshlrev_b64 v[15:16], 4, v[15:16]
	v_add_co_ci_u32_e64 v14, s0, v1, v14, s0
	v_mov_b32_e32 v12, v23
	v_add_co_u32 v10, s0, v0, v10
	v_mov_b32_e32 v21, v24
	v_mad_u64_u32 v[24:25], null, s2, v107, 0
	v_mad_u64_u32 v[26:27], null, s3, v103, v[12:13]
	v_lshlrev_b64 v[19:20], 4, v[20:21]
	v_add_co_ci_u32_e64 v11, s0, v1, v11, s0
	v_add_co_u32 v15, s0, v0, v15
	v_mov_b32_e32 v12, v25
	v_mov_b32_e32 v23, v26
	s_clause 0x1
	global_load_dwordx4 v[44:47], v[2:3], off
	global_load_dwordx4 v[32:35], v[4:5], off
	v_add_co_ci_u32_e64 v16, s0, v1, v16, s0
	v_mad_u64_u32 v[25:26], null, s3, v107, v[12:13]
	v_mad_u64_u32 v[26:27], null, s2, v108, 0
	v_lshlrev_b64 v[21:22], 4, v[22:23]
	v_add_co_u32 v17, s0, v0, v17
	v_add_co_ci_u32_e64 v18, s0, v1, v18, s0
	v_lshlrev_b64 v[23:24], 4, v[24:25]
	v_mov_b32_e32 v12, v27
	v_mov_b32_e32 v25, v41
	v_add_co_u32 v19, s0, v0, v19
	v_add_co_ci_u32_e64 v20, s0, v1, v20, s0
	v_mad_u64_u32 v[27:28], null, s3, v108, v[12:13]
	v_mad_u64_u32 v[28:29], null, s3, v105, v[25:26]
	v_add_nc_u32_e32 v25, 0x318, v102
	v_mov_b32_e32 v12, v43
	v_add_co_u32 v21, s0, v0, v21
	v_lshlrev_b64 v[4:5], 4, v[26:27]
	v_mad_u64_u32 v[48:49], null, s2, v25, 0
	v_mad_u64_u32 v[2:3], null, s3, v30, v[12:13]
	v_mov_b32_e32 v41, v28
	s_clause 0x1
	global_load_dwordx4 v[28:31], v[6:7], off
	global_load_dwordx4 v[36:39], v[8:9], off
	v_add_co_ci_u32_e64 v22, s0, v1, v22, s0
	v_mov_b32_e32 v3, v49
	v_add_co_u32 v23, s0, v0, v23
	v_mov_b32_e32 v43, v2
	v_add_co_ci_u32_e64 v24, s0, v1, v24, s0
	v_mad_u64_u32 v[6:7], null, s3, v25, v[3:4]
	v_lshlrev_b64 v[7:8], 4, v[40:41]
	v_add_co_u32 v2, s0, v0, v4
	v_add_co_ci_u32_e64 v3, s0, v1, v5, s0
	v_lshlrev_b64 v[4:5], 4, v[42:43]
	v_mov_b32_e32 v49, v6
	v_add_co_u32 v6, s0, v0, v7
	v_add_co_ci_u32_e64 v7, s0, v1, v8, s0
	v_lshlrev_b64 v[8:9], 4, v[48:49]
	v_add_co_u32 v4, s0, v0, v4
	v_add_co_ci_u32_e64 v5, s0, v1, v5, s0
	v_add_co_u32 v8, s0, v0, v8
	v_add_co_ci_u32_e64 v9, s0, v1, v9, s0
	s_clause 0xa
	global_load_dwordx4 v[52:55], v[13:14], off
	global_load_dwordx4 v[40:43], v[10:11], off
	;; [unrolled: 1-line block ×11, first 2 shown]
	v_cmpx_gt_u32_e32 18, v102
	s_cbranch_execz .LBB0_14
; %bb.13:
	v_add_nc_u32_e32 v8, 0x10e, v102
	v_add_nc_u32_e32 v10, 0x22e, v102
	v_add_nc_u32_e32 v11, 0x34e, v102
	v_mad_u64_u32 v[2:3], null, s2, v8, 0
	v_mad_u64_u32 v[4:5], null, s2, v10, 0
	;; [unrolled: 1-line block ×6, first 2 shown]
	v_mov_b32_e32 v3, v8
	v_mov_b32_e32 v5, v9
	v_lshlrev_b64 v[2:3], 4, v[2:3]
	v_mov_b32_e32 v7, v10
	v_lshlrev_b64 v[4:5], 4, v[4:5]
	v_add_co_u32 v2, s0, v0, v2
	v_lshlrev_b64 v[6:7], 4, v[6:7]
	v_add_co_ci_u32_e64 v3, s0, v1, v3, s0
	v_add_co_u32 v4, s0, v0, v4
	v_add_co_ci_u32_e64 v5, s0, v1, v5, s0
	v_add_co_u32 v0, s0, v0, v6
	v_add_co_ci_u32_e64 v1, s0, v1, v7, s0
	s_clause 0x2
	global_load_dwordx4 v[92:95], v[2:3], off
	global_load_dwordx4 v[96:99], v[4:5], off
	;; [unrolled: 1-line block ×3, first 2 shown]
.LBB0_14:
	s_or_b32 exec_lo, exec_lo, s4
	v_mov_b32_e32 v119, v105
	v_mov_b32_e32 v118, v103
	;; [unrolled: 1-line block ×4, first 2 shown]
.LBB0_15:
	s_or_b32 exec_lo, exec_lo, s1
	s_waitcnt vmcnt(12)
	v_add_f64 v[0:1], v[32:33], v[28:29]
	s_waitcnt vmcnt(9)
	v_add_f64 v[2:3], v[52:53], v[40:41]
	;; [unrolled: 2-line block ×5, first 2 shown]
	v_add_f64 v[10:11], v[76:77], v[60:61]
	v_add_f64 v[12:13], v[32:33], v[44:45]
	v_add_f64 v[14:15], v[34:35], -v[30:31]
	v_add_f64 v[16:17], v[36:37], v[52:53]
	v_add_f64 v[18:19], v[54:55], -v[42:43]
	v_add_f64 v[20:21], v[64:65], v[80:81]
	v_add_f64 v[22:23], v[68:69], v[84:85]
	;; [unrolled: 1-line block ×4, first 2 shown]
	v_add_f64 v[120:121], v[66:67], -v[50:51]
	s_mov_b32 s0, 0xe8584caa
	s_mov_b32 s1, 0x3febb67a
	;; [unrolled: 1-line block ×4, first 2 shown]
	v_mad_i32_i24 v122, v117, 24, 0
	v_fma_f64 v[44:45], v[0:1], -0.5, v[44:45]
	v_fma_f64 v[2:3], v[2:3], -0.5, v[36:37]
	v_add_f64 v[36:37], v[70:71], -v[58:59]
	v_fma_f64 v[4:5], v[4:5], -0.5, v[80:81]
	v_add_f64 v[80:81], v[98:99], -v[90:91]
	;; [unrolled: 2-line block ×3, first 2 shown]
	v_fma_f64 v[8:9], v[8:9], -0.5, v[92:93]
	v_fma_f64 v[10:11], v[10:11], -0.5, v[72:73]
	v_add_f64 v[12:13], v[28:29], v[12:13]
	v_add_f64 v[16:17], v[16:17], v[40:41]
	;; [unrolled: 1-line block ×6, first 2 shown]
	v_fma_f64 v[24:25], v[14:15], s[0:1], v[44:45]
	v_fma_f64 v[26:27], v[18:19], s[0:1], v[2:3]
	;; [unrolled: 1-line block ×12, first 2 shown]
	v_mad_u32_u24 v45, v102, 24, 0
	v_mad_i32_i24 v44, v116, 24, 0
	v_cmp_gt_u32_e64 s0, 18, v102
	v_mad_i32_i24 v8, v118, 24, 0
	v_mad_i32_i24 v9, v119, 24, 0
	ds_write2_b64 v45, v[12:13], v[24:25] offset1:1
	ds_write_b64 v45, v[14:15] offset:16
	ds_write2_b64 v44, v[16:17], v[26:27] offset1:1
	ds_write_b64 v44, v[18:19] offset:16
	;; [unrolled: 2-line block ×5, first 2 shown]
	s_and_saveexec_b32 s1, s0
	s_cbranch_execz .LBB0_17
; %bb.16:
	v_add_nc_u32_e32 v8, 0x1950, v45
	ds_write2_b64 v8, v[0:1], v[2:3] offset1:1
	ds_write_b64 v45, v[84:85] offset:6496
.LBB0_17:
	s_or_b32 exec_lo, exec_lo, s1
	v_lshlrev_b32_e32 v8, 4, v102
	v_lshlrev_b32_e32 v115, 4, v116
	s_waitcnt lgkmcnt(0)
	s_barrier
	buffer_gl0_inv
	v_sub_nc_u32_e32 v120, v45, v8
	v_sub_nc_u32_e32 v37, v44, v115
	v_mul_i32_i24_e32 v124, 24, v118
	v_mul_i32_i24_e32 v121, 24, v119
	v_cmp_gt_u32_e64 s1, 36, v102
	v_add_nc_u32_e32 v12, 0x400, v120
	v_add_nc_u32_e32 v16, 0x800, v120
	;; [unrolled: 1-line block ×4, first 2 shown]
	ds_read2_b64 v[8:11], v120 offset1:144
	ds_read2_b64 v[12:15], v12 offset0:70 offset1:160
	ds_read2_b64 v[16:19], v16 offset0:86 offset1:176
	;; [unrolled: 1-line block ×4, first 2 shown]
	ds_read_b64 v[80:81], v37
	ds_read_b64 v[92:93], v120 offset:6192
	v_lshlrev_b32_e32 v123, 4, v117
	s_and_saveexec_b32 s4, s1
	s_cbranch_execz .LBB0_19
; %bb.18:
	v_add_nc_u32_e32 v0, 0x600, v120
	v_sub_nc_u32_e32 v37, v122, v123
	ds_read2_b64 v[4:7], v0 offset0:60 offset1:204
	ds_read2_b64 v[0:3], v36 offset0:28 offset1:172
	ds_read_b64 v[72:73], v37
	ds_read_b64 v[84:85], v120 offset:6624
.LBB0_19:
	s_or_b32 exec_lo, exec_lo, s4
	v_add_f64 v[36:37], v[34:35], v[30:31]
	v_add_f64 v[125:126], v[54:55], v[42:43]
	;; [unrolled: 1-line block ×7, first 2 shown]
	v_add_f64 v[28:29], v[32:33], -v[28:29]
	v_add_f64 v[32:33], v[38:39], v[54:55]
	v_add_f64 v[54:55], v[66:67], v[82:83]
	;; [unrolled: 1-line block ×5, first 2 shown]
	v_add_f64 v[40:41], v[52:53], -v[40:41]
	v_add_f64 v[52:53], v[68:69], -v[56:57]
	;; [unrolled: 1-line block ×3, first 2 shown]
	s_mov_b32 s4, 0xe8584caa
	s_mov_b32 s5, 0xbfebb67a
	;; [unrolled: 1-line block ×4, first 2 shown]
	s_waitcnt lgkmcnt(0)
	s_barrier
	v_fma_f64 v[36:37], v[36:37], -0.5, v[46:47]
	v_fma_f64 v[38:39], v[125:126], -0.5, v[38:39]
	;; [unrolled: 1-line block ×3, first 2 shown]
	v_add_f64 v[74:75], v[96:97], -v[88:89]
	v_fma_f64 v[76:77], v[133:134], -0.5, v[94:95]
	v_add_f64 v[46:47], v[64:65], -v[48:49]
	v_fma_f64 v[48:49], v[127:128], -0.5, v[82:83]
	v_fma_f64 v[64:65], v[129:130], -0.5, v[86:87]
	v_add_f64 v[30:31], v[30:31], v[34:35]
	v_add_f64 v[42:43], v[32:33], v[42:43]
	;; [unrolled: 1-line block ×6, first 2 shown]
	buffer_gl0_inv
	v_fma_f64 v[62:63], v[28:29], s[4:5], v[36:37]
	v_fma_f64 v[28:29], v[28:29], s[6:7], v[36:37]
	;; [unrolled: 1-line block ×12, first 2 shown]
	v_sub_nc_u32_e32 v40, 0, v115
	v_add_nc_u32_e32 v115, 0x10e, v102
	v_add_nc_u32_e32 v41, 0, v124
	;; [unrolled: 1-line block ×3, first 2 shown]
	ds_write2_b64 v45, v[30:31], v[62:63] offset1:1
	ds_write_b64 v45, v[28:29] offset:16
	ds_write2_b64 v44, v[42:43], v[66:67] offset1:1
	ds_write_b64 v44, v[70:71] offset:16
	;; [unrolled: 2-line block ×5, first 2 shown]
	s_and_saveexec_b32 s4, s0
	s_cbranch_execz .LBB0_21
; %bb.20:
	v_mad_u32_u24 v28, v115, 24, 0
	ds_write2_b64 v28, v[32:33], v[34:35] offset1:1
	ds_write_b64 v28, v[58:59] offset:16
.LBB0_21:
	s_or_b32 exec_lo, exec_lo, s4
	v_add_nc_u32_e32 v41, 0x400, v120
	v_add_nc_u32_e32 v42, 0x800, v120
	;; [unrolled: 1-line block ×5, first 2 shown]
	s_waitcnt lgkmcnt(0)
	s_barrier
	buffer_gl0_inv
	ds_read2_b64 v[28:31], v120 offset1:144
	ds_read2_b64 v[44:47], v41 offset0:70 offset1:160
	ds_read2_b64 v[40:43], v42 offset0:86 offset1:176
	;; [unrolled: 1-line block ×4, first 2 shown]
	ds_read_b64 v[62:63], v121
	ds_read_b64 v[60:61], v120 offset:6192
	s_and_saveexec_b32 s4, s1
	s_cbranch_execz .LBB0_23
; %bb.22:
	v_add_nc_u32_e32 v32, 0x600, v120
	v_sub_nc_u32_e32 v56, v122, v123
	ds_read2_b64 v[36:39], v32 offset0:60 offset1:204
	ds_read2_b64 v[32:35], v64 offset0:28 offset1:172
	ds_read_b64 v[56:57], v56
	ds_read_b64 v[58:59], v120 offset:6624
.LBB0_23:
	s_or_b32 exec_lo, exec_lo, s4
	v_and_b32_e32 v94, 0xff, v102
	v_and_b32_e32 v64, 0xff, v116
	;; [unrolled: 1-line block ×3, first 2 shown]
	s_mov_b32 s4, 0xe8584caa
	s_mov_b32 s5, 0x3febb67a
	v_mul_lo_u16 v65, 0xab, v94
	v_mul_lo_u16 v64, 0xab, v64
	s_mov_b32 s7, 0xbfebb67a
	s_mov_b32 s6, s4
	v_lshrrev_b16 v180, 9, v65
	v_mul_lo_u16 v65, 0xab, v66
	v_lshrrev_b16 v181, 9, v64
	v_mov_b32_e32 v66, 5
	v_mul_lo_u16 v64, v180, 3
	v_lshrrev_b16 v95, 9, v65
	v_mul_lo_u16 v65, v181, 3
	v_sub_nc_u16 v182, v102, v64
	v_mul_lo_u16 v64, v95, 3
	v_sub_nc_u16 v183, v116, v65
	v_mul_u32_u24_sdwa v65, v182, v66 dst_sel:DWORD dst_unused:UNUSED_PAD src0_sel:BYTE_0 src1_sel:DWORD
	v_sub_nc_u16 v96, v117, v64
	v_mul_u32_u24_sdwa v64, v183, v66 dst_sel:DWORD dst_unused:UNUSED_PAD src0_sel:BYTE_0 src1_sel:DWORD
	v_lshlrev_b32_e32 v78, 4, v65
	v_mul_u32_u24_sdwa v74, v96, v66 dst_sel:DWORD dst_unused:UNUSED_PAD src0_sel:BYTE_0 src1_sel:DWORD
	v_lshlrev_b32_e32 v79, 4, v64
	s_clause 0x1
	global_load_dwordx4 v[64:67], v78, s[8:9] offset:32
	global_load_dwordx4 v[68:71], v78, s[8:9] offset:64
	v_lshlrev_b32_e32 v82, 4, v74
	s_clause 0xc
	global_load_dwordx4 v[74:77], v79, s[8:9] offset:32
	global_load_dwordx4 v[86:89], v79, s[8:9] offset:64
	;; [unrolled: 1-line block ×4, first 2 shown]
	global_load_dwordx4 v[130:133], v78, s[8:9]
	global_load_dwordx4 v[134:137], v79, s[8:9]
	;; [unrolled: 1-line block ×3, first 2 shown]
	global_load_dwordx4 v[142:145], v78, s[8:9] offset:48
	global_load_dwordx4 v[146:149], v78, s[8:9] offset:16
	global_load_dwordx4 v[150:153], v79, s[8:9] offset:16
	global_load_dwordx4 v[154:157], v79, s[8:9] offset:48
	global_load_dwordx4 v[158:161], v82, s[8:9] offset:16
	global_load_dwordx4 v[162:165], v82, s[8:9] offset:48
	s_waitcnt vmcnt(0) lgkmcnt(0)
	s_barrier
	buffer_gl0_inv
	v_mul_f64 v[90:91], v[52:53], v[76:77]
	v_mul_f64 v[76:77], v[24:25], v[76:77]
	;; [unrolled: 1-line block ×18, first 2 shown]
	v_fma_f64 v[90:91], v[24:25], v[74:75], -v[90:91]
	v_fma_f64 v[24:25], v[32:33], v[126:127], v[168:169]
	v_fma_f64 v[0:1], v[0:1], v[126:127], -v[128:129]
	v_mul_f64 v[32:33], v[54:55], v[144:145]
	v_fma_f64 v[176:177], v[18:19], v[64:65], -v[78:79]
	v_fma_f64 v[64:65], v[42:43], v[64:65], v[66:67]
	v_fma_f64 v[18:19], v[50:51], v[68:69], v[82:83]
	v_fma_f64 v[178:179], v[22:23], v[68:69], -v[70:71]
	v_fma_f64 v[50:51], v[52:53], v[74:75], v[76:77]
	v_fma_f64 v[52:53], v[84:85], v[122:123], -v[166:167]
	v_fma_f64 v[22:23], v[58:59], v[122:123], v[124:125]
	v_fma_f64 v[42:43], v[60:61], v[86:87], v[97:98]
	v_fma_f64 v[60:61], v[92:93], v[86:87], -v[88:89]
	v_mul_f64 v[68:69], v[46:47], v[148:149]
	v_mul_f64 v[70:71], v[40:41], v[152:153]
	;; [unrolled: 1-line block ×5, first 2 shown]
	v_fma_f64 v[92:93], v[10:11], v[130:131], -v[170:171]
	v_fma_f64 v[66:67], v[30:31], v[130:131], v[132:133]
	v_fma_f64 v[82:83], v[4:5], v[138:139], -v[174:175]
	v_fma_f64 v[30:31], v[36:37], v[138:139], v[140:141]
	;; [unrolled: 2-line block ×3, first 2 shown]
	v_mul_f64 v[58:59], v[26:27], v[144:145]
	v_mul_f64 v[84:85], v[14:15], v[148:149]
	;; [unrolled: 1-line block ×4, first 2 shown]
	v_add_f64 v[10:11], v[64:65], v[18:19]
	v_add_f64 v[97:98], v[176:177], v[178:179]
	v_mul_f64 v[132:133], v[6:7], v[160:161]
	v_add_f64 v[126:127], v[0:1], v[52:53]
	v_add_f64 v[4:5], v[24:25], v[22:23]
	;; [unrolled: 1-line block ×4, first 2 shown]
	v_mul_f64 v[134:135], v[2:3], v[164:165]
	v_fma_f64 v[76:77], v[26:27], v[142:143], -v[32:33]
	v_fma_f64 v[78:79], v[14:15], v[146:147], -v[68:69]
	;; [unrolled: 1-line block ×6, first 2 shown]
	v_add_f64 v[86:87], v[64:65], -v[18:19]
	v_add_f64 v[88:89], v[176:177], -v[178:179]
	;; [unrolled: 1-line block ×6, first 2 shown]
	v_fma_f64 v[2:3], v[54:55], v[142:143], v[58:59]
	v_fma_f64 v[46:47], v[46:47], v[146:147], v[84:85]
	v_fma_f64 v[136:137], v[10:11], -0.5, v[66:67]
	v_fma_f64 v[97:98], v[97:98], -0.5, v[92:93]
	v_fma_f64 v[32:33], v[38:39], v[158:159], v[132:133]
	v_fma_f64 v[126:127], v[126:127], -0.5, v[82:83]
	v_fma_f64 v[156:157], v[4:5], -0.5, v[30:31]
	;; [unrolled: 1-line block ×4, first 2 shown]
	v_fma_f64 v[4:5], v[48:49], v[154:155], v[130:131]
	v_fma_f64 v[26:27], v[34:35], v[162:163], v[134:135]
	v_add_f64 v[34:35], v[78:79], v[76:77]
	v_fma_f64 v[40:41], v[40:41], v[150:151], v[128:129]
	v_add_f64 v[38:39], v[70:71], v[74:75]
	v_add_f64 v[58:59], v[8:9], v[78:79]
	;; [unrolled: 1-line block ×6, first 2 shown]
	v_add_f64 v[84:85], v[46:47], -v[2:3]
	v_fma_f64 v[20:21], v[88:89], s[6:7], v[136:137]
	v_fma_f64 v[16:17], v[86:87], s[6:7], v[97:98]
	v_fma_f64 v[54:55], v[86:87], s[4:5], v[97:98]
	v_fma_f64 v[6:7], v[148:149], s[6:7], v[126:127]
	v_fma_f64 v[12:13], v[152:153], s[6:7], v[156:157]
	v_fma_f64 v[14:15], v[140:141], s[6:7], v[144:145]
	v_fma_f64 v[10:11], v[138:139], s[6:7], v[124:125]
	v_add_f64 v[122:123], v[32:33], -v[26:27]
	v_fma_f64 v[132:133], v[34:35], -0.5, v[8:9]
	v_fma_f64 v[34:35], v[148:149], s[4:5], v[126:127]
	v_fma_f64 v[134:135], v[38:39], -0.5, v[80:81]
	v_fma_f64 v[80:81], v[88:89], s[4:5], v[136:137]
	;; [unrolled: 2-line block ×3, first 2 shown]
	v_add_f64 v[130:131], v[40:41], -v[4:5]
	v_fma_f64 v[38:39], v[138:139], s[4:5], v[124:125]
	v_fma_f64 v[48:49], v[140:141], s[4:5], v[144:145]
	v_add_f64 v[58:59], v[58:59], v[76:77]
	v_add_f64 v[92:93], v[92:93], v[178:179]
	;; [unrolled: 1-line block ×4, first 2 shown]
	v_mul_f64 v[86:87], v[20:21], s[4:5]
	v_mul_f64 v[88:89], v[16:17], -0.5
	v_mul_f64 v[136:137], v[6:7], -0.5
	v_mul_f64 v[126:127], v[12:13], s[4:5]
	v_mul_f64 v[97:98], v[14:15], s[4:5]
	v_mul_f64 v[124:125], v[10:11], -0.5
	v_fma_f64 v[138:139], v[84:85], s[4:5], v[132:133]
	v_fma_f64 v[132:133], v[84:85], s[6:7], v[132:133]
	;; [unrolled: 1-line block ×5, first 2 shown]
	v_add_f64 v[134:135], v[128:129], v[60:61]
	v_fma_f64 v[140:141], v[54:55], 0.5, v[86:87]
	v_fma_f64 v[144:145], v[80:81], s[4:5], v[88:89]
	v_fma_f64 v[86:87], v[122:123], s[6:7], v[142:143]
	v_fma_f64 v[90:91], v[8:9], s[4:5], v[136:137]
	v_fma_f64 v[88:89], v[34:35], 0.5, v[126:127]
	v_fma_f64 v[98:99], v[38:39], 0.5, v[97:98]
	v_fma_f64 v[124:125], v[48:49], s[4:5], v[124:125]
	v_add_f64 v[122:123], v[58:59], v[92:93]
	v_add_f64 v[126:127], v[58:59], -v[92:93]
	v_add_f64 v[128:129], v[128:129], -v[60:61]
	v_mov_b32_e32 v97, 0x90
	v_mul_u32_u24_sdwa v92, v180, v97 dst_sel:DWORD dst_unused:UNUSED_PAD src0_sel:WORD_0 src1_sel:DWORD
	v_add_f64 v[136:137], v[138:139], v[140:141]
	v_add_f64 v[142:143], v[132:133], v[144:145]
	v_add_f64 v[138:139], v[138:139], -v[140:141]
	v_add_f64 v[60:61], v[86:87], -v[90:91]
	;; [unrolled: 1-line block ×4, first 2 shown]
	v_add_f64 v[140:141], v[146:147], v[98:99]
	v_add_f64 v[144:145], v[130:131], v[124:125]
	v_add_f64 v[146:147], v[146:147], -v[98:99]
	v_add_f64 v[124:125], v[130:131], -v[124:125]
	v_mov_b32_e32 v98, 3
	v_mul_u32_u24_sdwa v99, v181, v97 dst_sel:DWORD dst_unused:UNUSED_PAD src0_sel:WORD_0 src1_sel:DWORD
	v_lshlrev_b32_sdwa v93, v98, v182 dst_sel:DWORD dst_unused:UNUSED_PAD src0_sel:DWORD src1_sel:BYTE_0
	v_lshlrev_b32_sdwa v130, v98, v183 dst_sel:DWORD dst_unused:UNUSED_PAD src0_sel:DWORD src1_sel:BYTE_0
	v_add3_u32 v93, 0, v92, v93
	v_add3_u32 v92, 0, v99, v130
	ds_write2_b64 v93, v[122:123], v[136:137] offset1:3
	ds_write2_b64 v93, v[142:143], v[126:127] offset0:6 offset1:9
	ds_write2_b64 v93, v[138:139], v[132:133] offset0:12 offset1:15
	ds_write2_b64 v92, v[134:135], v[140:141] offset1:3
	ds_write2_b64 v92, v[144:145], v[128:129] offset0:6 offset1:9
	ds_write2_b64 v92, v[146:147], v[124:125] offset0:12 offset1:15
	s_and_saveexec_b32 s10, s1
	s_cbranch_execz .LBB0_25
; %bb.24:
	v_add_f64 v[72:73], v[72:73], v[36:37]
	v_add_f64 v[0:1], v[82:83], v[0:1]
	;; [unrolled: 1-line block ×7, first 2 shown]
	v_add_f64 v[0:1], v[72:73], -v[0:1]
	v_mul_u32_u24_sdwa v72, v95, v97 dst_sel:DWORD dst_unused:UNUSED_PAD src0_sel:WORD_0 src1_sel:DWORD
	v_lshlrev_b32_sdwa v73, v98, v96 dst_sel:DWORD dst_unused:UNUSED_PAD src0_sel:DWORD src1_sel:BYTE_0
	v_add3_u32 v72, 0, v72, v73
	ds_write2_b64 v72, v[84:85], v[82:83] offset1:3
	ds_write2_b64 v72, v[52:53], v[0:1] offset0:6 offset1:9
	ds_write2_b64 v72, v[58:59], v[60:61] offset0:12 offset1:15
.LBB0_25:
	s_or_b32 exec_lo, exec_lo, s10
	v_add_f64 v[0:1], v[46:47], v[2:3]
	v_add_f64 v[52:53], v[40:41], v[4:5]
	;; [unrolled: 1-line block ×4, first 2 shown]
	v_add_f64 v[76:77], v[78:79], -v[76:77]
	v_add_f64 v[64:65], v[66:67], v[64:65]
	v_mul_f64 v[54:55], v[54:55], s[6:7]
	v_add_f64 v[40:41], v[62:63], v[40:41]
	v_add_f64 v[74:75], v[70:71], -v[74:75]
	v_add_f64 v[44:45], v[44:45], v[50:51]
	v_mul_f64 v[48:49], v[48:49], -0.5
	v_add_f64 v[50:51], v[36:37], -v[68:69]
	v_mul_f64 v[8:9], v[8:9], -0.5
	v_mul_f64 v[66:67], v[80:81], -0.5
	v_mul_f64 v[38:39], v[38:39], s[6:7]
	v_lshl_add_u32 v123, v117, 3, 0
	v_lshl_add_u32 v124, v118, 3, 0
	;; [unrolled: 1-line block ×3, first 2 shown]
	s_waitcnt lgkmcnt(0)
	s_barrier
	buffer_gl0_inv
	v_lshl_add_u32 v122, v102, 3, 0
	v_fma_f64 v[0:1], v[0:1], -0.5, v[28:29]
	v_mul_f64 v[28:29], v[34:35], s[6:7]
	v_fma_f64 v[34:35], v[52:53], -0.5, v[62:63]
	v_fma_f64 v[52:53], v[72:73], -0.5, v[56:57]
	v_add_f64 v[62:63], v[46:47], v[2:3]
	v_add_f64 v[64:65], v[64:65], v[18:19]
	v_fma_f64 v[54:55], v[20:21], 0.5, v[54:55]
	v_add_f64 v[68:69], v[40:41], v[4:5]
	v_add_nc_u32_e32 v70, 0x800, v120
	v_add_f64 v[78:79], v[44:45], v[42:43]
	v_fma_f64 v[10:11], v[10:11], s[6:7], v[48:49]
	v_add_nc_u32_e32 v72, 0x1000, v120
	v_add_nc_u32_e32 v71, 0x1400, v120
	v_fma_f64 v[66:67], v[16:17], s[6:7], v[66:67]
	v_fma_f64 v[14:15], v[14:15], 0.5, v[38:39]
	v_fma_f64 v[80:81], v[76:77], s[6:7], v[0:1]
	v_fma_f64 v[28:29], v[12:13], 0.5, v[28:29]
	v_fma_f64 v[12:13], v[74:75], s[6:7], v[34:35]
	v_fma_f64 v[73:74], v[74:75], s[4:5], v[34:35]
	;; [unrolled: 1-line block ×6, first 2 shown]
	ds_read_b64 v[20:21], v120
	ds_read_b64 v[44:45], v123
	;; [unrolled: 1-line block ×5, first 2 shown]
	ds_read_b64 v[38:39], v122 offset:2160
	ds_read2_b64 v[0:3], v70 offset0:68 offset1:122
	ds_read2_b64 v[16:19], v70 offset0:176 offset1:230
	ds_read2_b64 v[4:7], v72 offset0:28 offset1:82
	v_add_f64 v[50:51], v[62:63], v[64:65]
	v_add_f64 v[52:53], v[62:63], -v[64:65]
	v_add_f64 v[82:83], v[68:69], v[78:79]
	v_add_f64 v[68:69], v[68:69], -v[78:79]
	;; [unrolled: 2-line block ×3, first 2 shown]
	v_add_f64 v[86:87], v[12:13], -v[14:15]
	v_add_f64 v[80:81], v[73:74], v[10:11]
	v_add_f64 v[73:74], v[73:74], -v[10:11]
	v_add_f64 v[62:63], v[36:37], -v[28:29]
	v_add_f64 v[64:65], v[48:49], -v[34:35]
	v_add_f64 v[84:85], v[76:77], v[66:67]
	v_add_f64 v[66:67], v[76:77], -v[66:67]
	v_add_f64 v[75:76], v[12:13], v[14:15]
	ds_read2_b64 v[12:15], v72 offset0:136 offset1:190
	ds_read2_b64 v[8:11], v71 offset0:116 offset1:170
	s_waitcnt lgkmcnt(0)
	s_barrier
	buffer_gl0_inv
	ds_write2_b64 v93, v[50:51], v[78:79] offset1:3
	ds_write2_b64 v93, v[84:85], v[52:53] offset0:6 offset1:9
	ds_write2_b64 v93, v[54:55], v[66:67] offset0:12 offset1:15
	ds_write2_b64 v92, v[82:83], v[75:76] offset1:3
	ds_write2_b64 v92, v[80:81], v[68:69] offset0:6 offset1:9
	ds_write2_b64 v92, v[86:87], v[73:74] offset0:12 offset1:15
	s_and_saveexec_b32 s4, s1
	s_cbranch_execz .LBB0_27
; %bb.26:
	v_add_f64 v[32:33], v[56:57], v[32:33]
	v_add_f64 v[24:25], v[30:31], v[24:25]
	;; [unrolled: 1-line block ×7, first 2 shown]
	v_add_f64 v[22:23], v[26:27], -v[22:23]
	v_mov_b32_e32 v26, 0x90
	v_mov_b32_e32 v27, 3
	v_mul_u32_u24_sdwa v26, v95, v26 dst_sel:DWORD dst_unused:UNUSED_PAD src0_sel:WORD_0 src1_sel:DWORD
	v_lshlrev_b32_sdwa v27, v27, v96 dst_sel:DWORD dst_unused:UNUSED_PAD src0_sel:DWORD src1_sel:BYTE_0
	v_add3_u32 v26, 0, v26, v27
	ds_write2_b64 v26, v[30:31], v[24:25] offset1:3
	ds_write2_b64 v26, v[28:29], v[22:23] offset0:6 offset1:9
	ds_write2_b64 v26, v[62:63], v[64:65] offset0:12 offset1:15
.LBB0_27:
	s_or_b32 exec_lo, exec_lo, s4
	v_mul_lo_u16 v22, v94, 57
	v_mov_b32_e32 v23, 15
	s_waitcnt lgkmcnt(0)
	s_barrier
	buffer_gl0_inv
	v_lshrrev_b16 v68, 10, v22
	s_mov_b32 s16, 0x667f3bcd
	s_mov_b32 s17, 0x3fe6a09e
	;; [unrolled: 1-line block ×4, first 2 shown]
	v_mul_lo_u16 v22, v68, 18
	s_mov_b32 s10, 0xcf328d46
	s_mov_b32 s11, 0xbfed906b
	;; [unrolled: 1-line block ×4, first 2 shown]
	v_sub_nc_u16 v69, v102, v22
	s_mov_b32 s14, 0xa6aea964
	s_mov_b32 s15, 0xbfd87de2
	;; [unrolled: 1-line block ×4, first 2 shown]
	v_mul_u32_u24_sdwa v22, v69, v23 dst_sel:DWORD dst_unused:UNUSED_PAD src0_sel:BYTE_0 src1_sel:DWORD
	v_lshlrev_b32_e32 v34, 4, v22
	s_clause 0xe
	global_load_dwordx4 v[30:33], v34, s[8:9] offset:240
	global_load_dwordx4 v[26:29], v34, s[8:9] offset:256
	;; [unrolled: 1-line block ×15, first 2 shown]
	ds_read_b64 v[66:67], v121
	ds_read_b64 v[97:98], v123
	;; [unrolled: 1-line block ×3, first 2 shown]
	ds_read2_b64 v[142:145], v72 offset0:28 offset1:82
	ds_read_b64 v[160:161], v122 offset:2160
	ds_read2_b64 v[34:37], v70 offset0:176 offset1:230
	ds_read2_b64 v[146:149], v70 offset0:68 offset1:122
	;; [unrolled: 1-line block ×4, first 2 shown]
	ds_read_b64 v[162:163], v125
	ds_read_b64 v[48:49], v120
	s_waitcnt vmcnt(0) lgkmcnt(0)
	s_barrier
	buffer_gl0_inv
	v_mul_f64 v[164:165], v[66:67], v[32:33]
	v_mul_f64 v[166:167], v[97:98], v[28:29]
	;; [unrolled: 1-line block ×29, first 2 shown]
	v_fma_f64 v[46:47], v[46:47], v[30:31], -v[164:165]
	v_fma_f64 v[44:45], v[44:45], v[26:27], -v[166:167]
	;; [unrolled: 1-line block ×3, first 2 shown]
	v_fma_f64 v[146:147], v[146:147], v[54:55], v[170:171]
	v_fma_f64 v[148:149], v[148:149], v[73:74], v[172:173]
	v_fma_f64 v[4:5], v[4:5], v[77:78], -v[174:175]
	v_fma_f64 v[150:151], v[150:151], v[85:86], v[178:179]
	v_fma_f64 v[164:165], v[16:17], v[22:23], -v[186:187]
	v_fma_f64 v[28:29], v[162:163], v[130:131], v[188:189]
	v_fma_f64 v[152:153], v[152:153], v[89:90], v[180:181]
	;; [unrolled: 1-line block ×3, first 2 shown]
	v_fma_f64 v[18:19], v[18:19], v[138:139], -v[192:193]
	v_fma_f64 v[160:161], v[160:161], v[134:135], v[190:191]
	v_fma_f64 v[6:7], v[6:7], v[81:82], -v[176:177]
	v_fma_f64 v[156:157], v[156:157], v[126:127], v[184:185]
	v_fma_f64 v[66:67], v[66:67], v[30:31], v[32:33]
	;; [unrolled: 1-line block ×4, first 2 shown]
	v_fma_f64 v[40:41], v[40:41], v[130:131], -v[132:133]
	v_fma_f64 v[12:13], v[12:13], v[85:86], -v[87:88]
	;; [unrolled: 1-line block ×3, first 2 shown]
	v_fma_f64 v[52:53], v[142:143], v[77:78], v[79:80]
	v_fma_f64 v[8:9], v[8:9], v[93:94], -v[95:96]
	v_fma_f64 v[38:39], v[38:39], v[134:135], -v[136:137]
	;; [unrolled: 1-line block ×3, first 2 shown]
	v_fma_f64 v[36:37], v[36:37], v[138:139], v[140:141]
	v_fma_f64 v[54:55], v[144:145], v[81:82], v[83:84]
	v_fma_f64 v[2:3], v[2:3], v[73:74], -v[75:76]
	v_fma_f64 v[10:11], v[10:11], v[126:127], -v[128:129]
	v_add_f64 v[56:57], v[20:21], -v[164:165]
	v_add_f64 v[26:27], v[28:29], -v[150:151]
	;; [unrolled: 1-line block ×15, first 2 shown]
	v_fma_f64 v[20:21], v[20:21], 2.0, -v[56:57]
	v_add_f64 v[79:80], v[56:57], -v[26:27]
	v_fma_f64 v[44:45], v[44:45], 2.0, -v[4:5]
	v_add_f64 v[84:85], v[4:5], -v[73:74]
	;; [unrolled: 2-line block ×4, first 2 shown]
	v_fma_f64 v[77:78], v[148:149], 2.0, -v[77:78]
	v_fma_f64 v[42:43], v[42:43], 2.0, -v[6:7]
	;; [unrolled: 1-line block ×5, first 2 shown]
	v_add_f64 v[8:9], v[12:13], v[8:9]
	v_fma_f64 v[38:39], v[38:39], 2.0, -v[14:15]
	v_add_f64 v[14:15], v[36:37], v[14:15]
	v_fma_f64 v[88:89], v[50:51], 2.0, -v[52:53]
	v_fma_f64 v[2:3], v[2:3], 2.0, -v[10:11]
	v_add_f64 v[10:11], v[52:53], v[10:11]
	v_fma_f64 v[90:91], v[56:57], 2.0, -v[79:80]
	v_fma_f64 v[56:57], v[66:67], 2.0, -v[36:37]
	;; [unrolled: 1-line block ×6, first 2 shown]
	v_add_f64 v[40:41], v[20:21], -v[40:41]
	v_add_f64 v[50:51], v[30:31], -v[73:74]
	;; [unrolled: 1-line block ×3, first 2 shown]
	v_fma_f64 v[0:1], v[12:13], 2.0, -v[8:9]
	v_add_f64 v[12:13], v[46:47], -v[38:39]
	v_fma_f64 v[73:74], v[36:37], 2.0, -v[14:15]
	v_fma_f64 v[36:37], v[84:85], s[16:17], v[79:80]
	v_add_f64 v[75:76], v[88:89], -v[77:78]
	v_fma_f64 v[38:39], v[86:87], s[16:17], v[81:82]
	v_add_f64 v[2:3], v[42:43], -v[2:3]
	v_fma_f64 v[52:53], v[52:53], 2.0, -v[10:11]
	v_fma_f64 v[94:95], v[10:11], s[16:17], v[14:15]
	v_fma_f64 v[77:78], v[4:5], s[18:19], v[90:91]
	v_add_f64 v[66:67], v[56:57], -v[66:67]
	v_fma_f64 v[92:93], v[6:7], s[18:19], v[18:19]
	v_fma_f64 v[20:21], v[20:21], 2.0, -v[40:41]
	v_add_f64 v[98:99], v[40:41], -v[50:51]
	v_fma_f64 v[44:45], v[44:45], 2.0, -v[54:55]
	v_fma_f64 v[96:97], v[46:47], 2.0, -v[12:13]
	v_fma_f64 v[126:127], v[8:9], s[18:19], v[36:37]
	v_add_f64 v[129:130], v[12:13], -v[75:76]
	v_fma_f64 v[38:39], v[10:11], s[18:19], v[38:39]
	v_fma_f64 v[42:43], v[42:43], 2.0, -v[2:3]
	v_fma_f64 v[10:11], v[52:53], s[18:19], v[73:74]
	v_fma_f64 v[75:76], v[88:89], 2.0, -v[75:76]
	v_fma_f64 v[131:132], v[0:1], s[18:19], v[77:78]
	v_add_f64 v[2:3], v[66:67], v[2:3]
	v_fma_f64 v[46:47], v[56:57], 2.0, -v[66:67]
	v_mov_b32_e32 v77, 0x120
	v_fma_f64 v[36:37], v[52:53], s[18:19], v[92:93]
	v_fma_f64 v[52:53], v[86:87], s[16:17], v[94:95]
	v_mul_u32_u24_sdwa v68, v68, v77 dst_sel:DWORD dst_unused:UNUSED_PAD src0_sel:WORD_0 src1_sel:DWORD
	v_fma_f64 v[88:89], v[40:41], 2.0, -v[98:99]
	v_add_f64 v[86:87], v[20:21], -v[44:45]
	v_or_b32_sdwa v77, v68, v69 dst_sel:DWORD dst_unused:UNUSED_PAD src0_sel:DWORD src1_sel:BYTE_0
	v_fma_f64 v[92:93], v[79:80], 2.0, -v[126:127]
	v_fma_f64 v[12:13], v[12:13], 2.0, -v[129:130]
	;; [unrolled: 1-line block ×3, first 2 shown]
	v_add_f64 v[40:41], v[96:97], -v[42:43]
	v_fma_f64 v[56:57], v[6:7], s[16:17], v[10:11]
	v_fma_f64 v[6:7], v[90:91], 2.0, -v[131:132]
	v_fma_f64 v[10:11], v[66:67], 2.0, -v[2:3]
	v_add_f64 v[78:79], v[46:47], -v[75:76]
	v_fma_f64 v[42:43], v[18:19], 2.0, -v[36:37]
	v_fma_f64 v[80:81], v[14:15], 2.0, -v[52:53]
	v_fma_f64 v[14:15], v[129:130], s[16:17], v[98:99]
	v_fma_f64 v[18:19], v[38:39], s[6:7], v[126:127]
	v_fma_f64 v[20:21], v[20:21], 2.0, -v[86:87]
	v_fma_f64 v[90:91], v[12:13], s[18:19], v[88:89]
	v_fma_f64 v[94:95], v[44:45], s[14:15], v[92:93]
	v_fma_f64 v[75:76], v[96:97], 2.0, -v[40:41]
	v_fma_f64 v[96:97], v[36:37], s[4:5], v[131:132]
	v_fma_f64 v[82:83], v[73:74], 2.0, -v[56:57]
	v_fma_f64 v[73:74], v[42:43], s[10:11], v[6:7]
	v_fma_f64 v[14:15], v[2:3], s[18:19], v[14:15]
	;; [unrolled: 1-line block ×3, first 2 shown]
	v_add_f64 v[18:19], v[86:87], -v[78:79]
	v_fma_f64 v[133:134], v[10:11], s[18:19], v[90:91]
	v_fma_f64 v[135:136], v[80:81], s[10:11], v[94:95]
	v_add_f64 v[75:76], v[20:21], -v[75:76]
	v_fma_f64 v[137:138], v[56:57], s[10:11], v[96:97]
	v_mul_f64 v[94:95], v[84:85], s[16:17]
	v_mul_f64 v[96:97], v[8:9], s[16:17]
	;; [unrolled: 1-line block ×4, first 2 shown]
	v_fma_f64 v[73:74], v[82:83], s[14:15], v[73:74]
	v_fma_f64 v[68:69], v[98:99], 2.0, -v[14:15]
	v_fma_f64 v[139:140], v[126:127], 2.0, -v[66:67]
	;; [unrolled: 1-line block ×3, first 2 shown]
	v_lshl_add_u32 v126, v77, 3, 0
	v_add_nc_u32_e32 v127, 0xc00, v120
	v_mul_f64 v[98:99], v[0:1], s[16:17]
	v_mul_f64 v[86:87], v[129:130], s[16:17]
	v_add_nc_u32_e32 v128, 0x400, v126
	v_fma_f64 v[143:144], v[88:89], 2.0, -v[133:134]
	v_fma_f64 v[145:146], v[92:93], 2.0, -v[135:136]
	;; [unrolled: 1-line block ×4, first 2 shown]
	v_mul_f64 v[92:93], v[4:5], s[16:17]
	v_mul_f64 v[88:89], v[10:11], s[16:17]
	v_fma_f64 v[6:7], v[6:7], 2.0, -v[73:74]
	ds_write2_b64 v128, v[14:15], v[66:67] offset0:124 offset1:142
	ds_write2_b64 v126, v[68:69], v[139:140] offset0:108 offset1:126
	;; [unrolled: 1-line block ×7, first 2 shown]
	ds_write2_b64 v126, v[20:21], v[6:7] offset1:18
	s_waitcnt lgkmcnt(0)
	s_barrier
	buffer_gl0_inv
	ds_read2_b64 v[0:3], v70 offset0:32 offset1:86
	ds_read2_b64 v[8:11], v127 offset0:120 offset1:192
	ds_read_b64 v[68:69], v121
	ds_read2_b64 v[4:7], v72 offset0:118 offset1:172
	ds_read2_b64 v[12:15], v70 offset0:140 offset1:194
	;; [unrolled: 1-line block ×3, first 2 shown]
	ds_read_b64 v[74:75], v120
	ds_read_b64 v[70:71], v123
	;; [unrolled: 1-line block ×4, first 2 shown]
	s_and_saveexec_b32 s1, s0
	s_cbranch_execz .LBB0_29
; %bb.28:
	ds_read_b64 v[58:59], v120 offset:4464
	ds_read_b64 v[66:67], v122 offset:2160
	;; [unrolled: 1-line block ×3, first 2 shown]
.LBB0_29:
	s_or_b32 exec_lo, exec_lo, s1
	v_mul_f64 v[16:17], v[16:17], v[24:25]
	v_fma_f64 v[24:25], v[28:29], 2.0, -v[26:27]
	v_fma_f64 v[30:31], v[30:31], 2.0, -v[50:51]
	;; [unrolled: 1-line block ×3, first 2 shown]
	s_waitcnt lgkmcnt(0)
	s_barrier
	buffer_gl0_inv
	v_fma_f64 v[16:17], v[34:35], v[22:23], v[16:17]
	v_add_f64 v[16:17], v[48:49], -v[16:17]
	v_add_f64 v[22:23], v[16:17], v[32:33]
	v_fma_f64 v[26:27], v[48:49], 2.0, -v[16:17]
	v_fma_f64 v[16:17], v[16:17], 2.0, -v[22:23]
	v_add_f64 v[24:25], v[26:27], -v[24:25]
	v_add_f64 v[28:29], v[22:23], v[96:97]
	v_add_f64 v[32:33], v[16:17], -v[98:99]
	v_add_f64 v[34:35], v[24:25], v[54:55]
	v_add_f64 v[28:29], v[94:95], v[28:29]
	v_fma_f64 v[26:27], v[26:27], 2.0, -v[24:25]
	v_add_f64 v[32:33], v[92:93], v[32:33]
	v_fma_f64 v[24:25], v[24:25], 2.0, -v[34:35]
	v_fma_f64 v[22:23], v[22:23], 2.0, -v[28:29]
	v_add_f64 v[30:31], v[26:27], -v[30:31]
	v_fma_f64 v[50:51], v[52:53], s[6:7], v[28:29]
	v_fma_f64 v[48:49], v[16:17], 2.0, -v[32:33]
	v_add_f64 v[16:17], v[34:35], v[90:91]
	v_add_f64 v[52:53], v[24:25], -v[88:89]
	v_fma_f64 v[54:55], v[80:81], s[14:15], v[22:23]
	v_fma_f64 v[56:57], v[56:57], s[4:5], v[32:33]
	v_fma_f64 v[26:27], v[26:27], 2.0, -v[30:31]
	v_fma_f64 v[78:79], v[82:83], s[10:11], v[48:49]
	v_add_f64 v[80:81], v[86:87], v[16:17]
	v_fma_f64 v[16:17], v[38:39], s[4:5], v[50:51]
	v_add_f64 v[38:39], v[30:31], v[40:41]
	v_add_f64 v[40:41], v[84:85], v[52:53]
	v_fma_f64 v[44:45], v[44:45], s[6:7], v[54:55]
	v_fma_f64 v[36:37], v[36:37], s[6:7], v[56:57]
	v_add_f64 v[46:47], v[26:27], -v[46:47]
	v_add_nc_u32_e32 v50, 0x800, v120
	v_add_nc_u32_e32 v51, 0x1000, v120
	;; [unrolled: 1-line block ×3, first 2 shown]
	v_fma_f64 v[42:43], v[42:43], s[4:5], v[78:79]
	v_fma_f64 v[34:35], v[34:35], 2.0, -v[80:81]
	v_fma_f64 v[28:29], v[28:29], 2.0, -v[16:17]
	;; [unrolled: 1-line block ×8, first 2 shown]
	ds_write2_b64 v128, v[80:81], v[16:17] offset0:124 offset1:142
	ds_write2_b64 v126, v[34:35], v[28:29] offset0:108 offset1:126
	ds_write2_b64 v126, v[40:41], v[44:45] offset0:180 offset1:198
	ds_write2_b64 v126, v[38:39], v[36:37] offset0:216 offset1:234
	ds_write2_b64 v126, v[24:25], v[22:23] offset0:36 offset1:54
	ds_write2_b64 v126, v[30:31], v[32:33] offset0:72 offset1:90
	ds_write2_b64 v126, v[46:47], v[42:43] offset0:144 offset1:162
	ds_write2_b64 v126, v[26:27], v[48:49] offset1:18
	s_waitcnt lgkmcnt(0)
	s_barrier
	buffer_gl0_inv
	ds_read2_b64 v[22:25], v50 offset0:32 offset1:86
	ds_read2_b64 v[26:29], v127 offset0:120 offset1:192
	ds_read_b64 v[80:81], v121
	ds_read2_b64 v[30:33], v51 offset0:118 offset1:172
	ds_read2_b64 v[34:37], v50 offset0:140 offset1:194
	;; [unrolled: 1-line block ×3, first 2 shown]
	ds_read_b64 v[82:83], v120
	ds_read_b64 v[84:85], v123
	;; [unrolled: 1-line block ×4, first 2 shown]
	s_and_saveexec_b32 s1, s0
	s_cbranch_execz .LBB0_31
; %bb.30:
	ds_read_b64 v[62:63], v120 offset:4464
	ds_read_b64 v[16:17], v122 offset:2160
	;; [unrolled: 1-line block ×3, first 2 shown]
.LBB0_31:
	s_or_b32 exec_lo, exec_lo, s1
	s_and_saveexec_b32 s1, vcc_lo
	s_cbranch_execz .LBB0_34
; %bb.32:
	v_lshlrev_b32_e32 v78, 1, v119
	v_mov_b32_e32 v79, 0
	v_mad_u64_u32 v[132:133], null, s2, v102, 0
	v_mad_u64_u32 v[134:135], null, s2, v114, 0
	v_lshlrev_b64 v[42:43], 4, v[78:79]
	v_lshlrev_b32_e32 v78, 1, v118
	v_mad_u64_u32 v[136:137], null, s2, v106, 0
	v_mad_u64_u32 v[138:139], null, s2, v111, 0
	v_add_co_u32 v46, vcc_lo, s8, v42
	v_add_co_ci_u32_e32 v47, vcc_lo, s9, v43, vcc_lo
	v_lshlrev_b64 v[42:43], 4, v[78:79]
	v_add_co_u32 v44, vcc_lo, 0x11d0, v46
	v_add_co_ci_u32_e32 v45, vcc_lo, 0, v47, vcc_lo
	v_lshlrev_b32_e32 v78, 1, v117
	v_add_co_u32 v48, vcc_lo, s8, v42
	v_add_co_ci_u32_e32 v49, vcc_lo, s9, v43, vcc_lo
	v_add_co_u32 v42, vcc_lo, 0x1000, v46
	v_add_co_ci_u32_e32 v43, vcc_lo, 0, v47, vcc_lo
	v_add_co_u32 v46, vcc_lo, 0x1000, v48
	v_lshlrev_b64 v[90:91], 4, v[78:79]
	v_add_co_ci_u32_e32 v47, vcc_lo, 0, v49, vcc_lo
	v_add_co_u32 v48, vcc_lo, 0x11d0, v48
	v_add_co_ci_u32_e32 v49, vcc_lo, 0, v49, vcc_lo
	v_add_co_u32 v94, vcc_lo, s8, v90
	v_lshlrev_b32_e32 v78, 1, v116
	v_add_co_ci_u32_e32 v95, vcc_lo, s9, v91, vcc_lo
	v_add_co_u32 v90, vcc_lo, 0x11d0, v94
	v_lshlrev_b64 v[92:93], 4, v[78:79]
	v_add_co_ci_u32_e32 v91, vcc_lo, 0, v95, vcc_lo
	v_add_co_u32 v94, vcc_lo, 0x1000, v94
	v_lshlrev_b32_e32 v78, 1, v102
	v_add_co_ci_u32_e32 v95, vcc_lo, 0, v95, vcc_lo
	v_add_co_u32 v96, vcc_lo, s8, v92
	v_add_co_ci_u32_e32 v97, vcc_lo, s9, v93, vcc_lo
	v_lshlrev_b64 v[92:93], 4, v[78:79]
	v_add_co_u32 v120, vcc_lo, 0x11d0, v96
	v_add_co_ci_u32_e32 v121, vcc_lo, 0, v97, vcc_lo
	s_clause 0x3
	global_load_dwordx4 v[50:53], v[42:43], off offset:464
	global_load_dwordx4 v[54:57], v[44:45], off offset:16
	;; [unrolled: 1-line block ×4, first 2 shown]
	v_add_co_u32 v78, vcc_lo, s8, v92
	v_add_co_ci_u32_e32 v92, vcc_lo, s9, v93, vcc_lo
	v_add_co_u32 v116, vcc_lo, 0x1000, v96
	v_add_co_ci_u32_e32 v117, vcc_lo, 0, v97, vcc_lo
	;; [unrolled: 2-line block ×4, first 2 shown]
	s_clause 0x5
	global_load_dwordx4 v[92:95], v[94:95], off offset:464
	global_load_dwordx4 v[96:99], v[90:91], off offset:16
	;; [unrolled: 1-line block ×6, first 2 shown]
	v_mul_hi_u32 v154, 0x38e38e39, v105
	v_add_co_u32 v90, vcc_lo, s12, v100
	v_mad_u64_u32 v[140:141], null, s2, v112, 0
	v_mad_u64_u32 v[142:143], null, s2, v104, 0
	;; [unrolled: 1-line block ×7, first 2 shown]
	v_add_co_ci_u32_e32 v91, vcc_lo, s13, v101, vcc_lo
	v_mad_u64_u32 v[100:101], null, s2, v113, 0
	v_mov_b32_e32 v78, v133
	v_mov_b32_e32 v133, v135
	;; [unrolled: 1-line block ×4, first 2 shown]
	v_lshrrev_b32_e32 v160, 6, v154
	v_mov_b32_e32 v139, v141
	v_mov_b32_e32 v141, v143
	;; [unrolled: 1-line block ×7, first 2 shown]
	v_mad_u64_u32 v[153:154], null, s3, v102, v[78:79]
	v_mad_u64_u32 v[154:155], null, s3, v113, v[101:102]
	;; [unrolled: 1-line block ×5, first 2 shown]
	v_mad_u32_u24 v114, 0x240, v160, v105
	v_mad_u64_u32 v[157:158], null, s3, v104, v[141:142]
	v_mad_u64_u32 v[103:104], null, s3, v103, v[147:148]
	v_mad_u64_u32 v[104:105], null, s3, v107, v[149:150]
	v_mad_u64_u32 v[158:159], null, s3, v109, v[143:144]
	v_mad_u64_u32 v[109:110], null, s3, v110, v[145:146]
	v_mad_u64_u32 v[105:106], null, s3, v108, v[151:152]
	v_mad_u64_u32 v[106:107], null, s2, v114, 0
	v_add_nc_u32_e32 v159, 0x120, v114
	v_add_nc_u32_e32 v160, 0x240, v114
	v_mad_u64_u32 v[111:112], null, s3, v112, v[139:140]
	v_mov_b32_e32 v149, v103
	v_mov_b32_e32 v151, v104
	v_mad_u64_u32 v[103:104], null, s2, v159, 0
	v_mov_b32_e32 v147, v109
	v_mad_u64_u32 v[108:109], null, s2, v160, 0
	v_mov_b32_e32 v135, v113
	v_mov_b32_e32 v139, v156
	v_mov_b32_e32 v143, v157
	v_mov_b32_e32 v78, v107
	v_mov_b32_e32 v133, v153
	v_mov_b32_e32 v137, v155
	v_mov_b32_e32 v141, v111
	v_mov_b32_e32 v145, v158
	v_mov_b32_e32 v153, v105
	v_lshlrev_b64 v[112:113], 4, v[134:135]
	v_lshlrev_b64 v[134:135], 4, v[138:139]
	;; [unrolled: 1-line block ×5, first 2 shown]
	v_mad_u64_u32 v[150:151], null, s3, v114, v[78:79]
	v_mov_b32_e32 v78, v104
	v_mov_b32_e32 v104, v109
	v_lshlrev_b64 v[110:111], 4, v[132:133]
	v_lshlrev_b64 v[132:133], 4, v[136:137]
	;; [unrolled: 1-line block ×6, first 2 shown]
	v_mad_u64_u32 v[151:152], null, s3, v159, v[78:79]
	v_mad_u64_u32 v[152:153], null, s3, v160, v[104:105]
	v_mov_b32_e32 v101, v154
	v_mov_b32_e32 v107, v150
	v_add_co_u32 v110, vcc_lo, v90, v110
	v_mov_b32_e32 v104, v151
	v_lshlrev_b64 v[100:101], 4, v[100:101]
	v_mov_b32_e32 v109, v152
	v_add_co_ci_u32_e32 v111, vcc_lo, v91, v111, vcc_lo
	v_lshlrev_b64 v[105:106], 4, v[106:107]
	s_mov_b32 s4, 0xe8584caa
	v_add_co_u32 v100, vcc_lo, v90, v100
	v_add_co_ci_u32_e32 v101, vcc_lo, v91, v101, vcc_lo
	v_add_co_u32 v112, vcc_lo, v90, v112
	v_add_co_ci_u32_e32 v113, vcc_lo, v91, v113, vcc_lo
	;; [unrolled: 2-line block ×11, first 2 shown]
	s_mov_b32 s5, 0x3febb67a
	s_mov_b32 s7, 0xbfebb67a
	;; [unrolled: 1-line block ×3, first 2 shown]
	v_lshlrev_b64 v[103:104], 4, v[103:104]
	v_lshlrev_b64 v[107:108], 4, v[108:109]
	s_waitcnt vmcnt(9) lgkmcnt(8)
	v_mul_f64 v[150:151], v[26:27], v[52:53]
	s_waitcnt vmcnt(8) lgkmcnt(4)
	v_mul_f64 v[152:153], v[40:41], v[56:57]
	v_mul_f64 v[52:53], v[8:9], v[52:53]
	;; [unrolled: 1-line block ×3, first 2 shown]
	s_waitcnt vmcnt(7)
	v_mul_f64 v[154:155], v[36:37], v[44:45]
	s_waitcnt vmcnt(6)
	v_mul_f64 v[156:157], v[38:39], v[48:49]
	v_mul_f64 v[44:45], v[14:15], v[44:45]
	;; [unrolled: 1-line block ×3, first 2 shown]
	s_waitcnt vmcnt(5)
	v_mul_f64 v[158:159], v[12:13], v[94:95]
	v_mul_f64 v[94:95], v[34:35], v[94:95]
	s_waitcnt vmcnt(3)
	v_mul_f64 v[162:163], v[2:3], v[118:119]
	s_waitcnt vmcnt(2)
	;; [unrolled: 2-line block ×4, first 2 shown]
	v_mul_f64 v[168:169], v[10:11], v[130:131]
	v_mul_f64 v[126:127], v[22:23], v[126:127]
	;; [unrolled: 1-line block ×7, first 2 shown]
	v_fma_f64 v[26:27], v[26:27], v[50:51], v[52:53]
	v_fma_f64 v[40:41], v[40:41], v[54:55], v[56:57]
	v_fma_f64 v[14:15], v[14:15], v[42:43], -v[154:155]
	v_fma_f64 v[36:37], v[36:37], v[42:43], v[44:45]
	v_fma_f64 v[38:39], v[38:39], v[46:47], v[48:49]
	v_fma_f64 v[18:19], v[18:19], v[46:47], -v[156:157]
	v_fma_f64 v[8:9], v[8:9], v[50:51], -v[150:151]
	;; [unrolled: 1-line block ×3, first 2 shown]
	v_fma_f64 v[34:35], v[34:35], v[92:93], v[158:159]
	v_fma_f64 v[24:25], v[24:25], v[116:117], v[162:163]
	;; [unrolled: 1-line block ×5, first 2 shown]
	v_fma_f64 v[0:1], v[0:1], v[124:125], -v[126:127]
	v_fma_f64 v[42:43], v[10:11], v[128:129], -v[130:131]
	;; [unrolled: 1-line block ×5, first 2 shown]
	v_fma_f64 v[32:33], v[32:33], v[96:97], v[160:161]
	v_fma_f64 v[44:45], v[6:7], v[96:97], -v[98:99]
	v_add_co_u32 v92, vcc_lo, v90, v105
	v_add_co_ci_u32_e32 v93, vcc_lo, v91, v106, vcc_lo
	v_add_f64 v[4:5], v[26:27], v[40:41]
	v_add_f64 v[50:51], v[36:37], v[38:39]
	s_waitcnt lgkmcnt(1)
	v_add_f64 v[52:53], v[86:87], v[36:37]
	v_add_f64 v[116:117], v[36:37], -v[38:39]
	v_add_f64 v[98:99], v[14:15], v[18:19]
	v_add_f64 v[48:49], v[8:9], v[20:21]
	v_add_f64 v[46:47], v[8:9], -v[20:21]
	v_add_f64 v[8:9], v[76:77], v[8:9]
	;; [unrolled: 3-line block ×3, first 2 shown]
	v_add_f64 v[14:15], v[72:73], v[14:15]
	v_add_f64 v[105:106], v[0:1], v[42:43]
	;; [unrolled: 1-line block ×7, first 2 shown]
	s_waitcnt lgkmcnt(0)
	v_add_f64 v[6:7], v[88:89], v[26:27]
	v_add_f64 v[128:129], v[80:81], v[24:25]
	v_add_f64 v[130:131], v[24:25], -v[30:31]
	v_add_f64 v[24:25], v[68:69], v[2:3]
	v_fma_f64 v[88:89], v[4:5], -0.5, v[88:89]
	v_add_f64 v[154:155], v[0:1], -v[42:43]
	v_fma_f64 v[86:87], v[50:51], -0.5, v[86:87]
	v_add_f64 v[22:23], v[22:23], -v[28:29]
	v_add_f64 v[124:125], v[70:71], v[10:11]
	v_add_f64 v[126:127], v[2:3], -v[12:13]
	v_add_f64 v[120:121], v[84:85], v[34:35]
	v_add_f64 v[118:119], v[10:11], -v[44:45]
	v_fma_f64 v[50:51], v[56:57], -0.5, v[80:81]
	v_add_f64 v[34:35], v[34:35], -v[32:33]
	v_fma_f64 v[56:57], v[96:97], -0.5, v[82:83]
	v_fma_f64 v[72:73], v[98:99], -0.5, v[72:73]
	;; [unrolled: 1-line block ×3, first 2 shown]
	v_add_f64 v[26:27], v[26:27], -v[40:41]
	v_fma_f64 v[76:77], v[48:49], -0.5, v[76:77]
	v_fma_f64 v[68:69], v[36:37], -0.5, v[68:69]
	;; [unrolled: 1-line block ×4, first 2 shown]
	v_add_f64 v[0:1], v[8:9], v[20:21]
	v_add_f64 v[4:5], v[14:15], v[18:19]
	;; [unrolled: 1-line block ×5, first 2 shown]
	v_fma_f64 v[24:25], v[46:47], s[4:5], v[88:89]
	v_fma_f64 v[28:29], v[46:47], s[6:7], v[88:89]
	v_add_f64 v[14:15], v[128:129], v[30:31]
	v_add_f64 v[8:9], v[124:125], v[44:45]
	;; [unrolled: 1-line block ×5, first 2 shown]
	v_fma_f64 v[40:41], v[126:127], s[4:5], v[50:51]
	v_fma_f64 v[52:53], v[126:127], s[6:7], v[50:51]
	;; [unrolled: 1-line block ×18, first 2 shown]
	v_add_co_u32 v72, vcc_lo, v90, v103
	v_add_co_ci_u32_e32 v73, vcc_lo, v91, v104, vcc_lo
	v_add_co_u32 v74, vcc_lo, v90, v107
	v_add_co_ci_u32_e32 v75, vcc_lo, v91, v108, vcc_lo
	global_store_dwordx4 v[110:111], v[18:21], off
	global_store_dwordx4 v[100:101], v[46:49], off
	;; [unrolled: 1-line block ×15, first 2 shown]
	s_and_b32 exec_lo, exec_lo, s0
	s_cbranch_execz .LBB0_34
; %bb.33:
	v_subrev_nc_u32_e32 v0, 18, v102
	v_add_nc_u32_e32 v30, 0x22e, v102
	v_add_nc_u32_e32 v31, 0x34e, v102
	v_mad_u64_u32 v[12:13], null, s2, v115, 0
	v_cndmask_b32_e64 v0, v0, v115, s0
	v_mad_u64_u32 v[14:15], null, s2, v30, 0
	v_mad_u64_u32 v[18:19], null, s2, v31, 0
	v_lshlrev_b32_e32 v78, 1, v0
	v_lshlrev_b64 v[0:1], 4, v[78:79]
	v_add_co_u32 v2, vcc_lo, s8, v0
	v_add_co_ci_u32_e32 v3, vcc_lo, s9, v1, vcc_lo
	v_add_co_u32 v0, vcc_lo, 0x1000, v2
	v_add_co_ci_u32_e32 v1, vcc_lo, 0, v3, vcc_lo
	;; [unrolled: 2-line block ×3, first 2 shown]
	s_clause 0x1
	global_load_dwordx4 v[0:3], v[0:1], off offset:464
	global_load_dwordx4 v[4:7], v[4:5], off offset:16
	s_waitcnt vmcnt(1)
	v_mul_f64 v[8:9], v[62:63], v[2:3]
	s_waitcnt vmcnt(0)
	v_mul_f64 v[10:11], v[64:65], v[6:7]
	v_mul_f64 v[2:3], v[58:59], v[2:3]
	v_mul_f64 v[6:7], v[60:61], v[6:7]
	v_fma_f64 v[8:9], v[58:59], v[0:1], -v[8:9]
	v_fma_f64 v[10:11], v[60:61], v[4:5], -v[10:11]
	v_fma_f64 v[0:1], v[62:63], v[0:1], v[2:3]
	v_fma_f64 v[2:3], v[64:65], v[4:5], v[6:7]
	v_add_f64 v[20:21], v[66:67], v[8:9]
	v_add_f64 v[4:5], v[8:9], v[10:11]
	;; [unrolled: 1-line block ×4, first 2 shown]
	v_add_f64 v[22:23], v[0:1], -v[2:3]
	v_add_f64 v[28:29], v[8:9], -v[10:11]
	v_mov_b32_e32 v0, v15
	v_mov_b32_e32 v1, v19
	v_fma_f64 v[26:27], v[4:5], -0.5, v[66:67]
	v_mad_u64_u32 v[4:5], null, s3, v115, v[13:14]
	v_fma_f64 v[16:17], v[6:7], -0.5, v[16:17]
	v_mad_u64_u32 v[5:6], null, s3, v30, v[0:1]
	v_mad_u64_u32 v[0:1], null, s3, v31, v[1:2]
	v_add_f64 v[2:3], v[24:25], v[2:3]
	v_mov_b32_e32 v13, v4
	v_mov_b32_e32 v15, v5
	;; [unrolled: 1-line block ×3, first 2 shown]
	v_add_f64 v[0:1], v[20:21], v[10:11]
	v_lshlrev_b64 v[12:13], 4, v[12:13]
	v_lshlrev_b64 v[14:15], 4, v[14:15]
	v_add_co_u32 v12, vcc_lo, v90, v12
	v_fma_f64 v[4:5], v[22:23], s[4:5], v[26:27]
	v_fma_f64 v[6:7], v[28:29], s[6:7], v[16:17]
	;; [unrolled: 1-line block ×4, first 2 shown]
	v_lshlrev_b64 v[16:17], 4, v[18:19]
	v_add_co_ci_u32_e32 v13, vcc_lo, v91, v13, vcc_lo
	v_add_co_u32 v14, vcc_lo, v90, v14
	v_add_co_ci_u32_e32 v15, vcc_lo, v91, v15, vcc_lo
	v_add_co_u32 v16, vcc_lo, v90, v16
	v_add_co_ci_u32_e32 v17, vcc_lo, v91, v17, vcc_lo
	global_store_dwordx4 v[12:13], v[0:3], off
	global_store_dwordx4 v[14:15], v[4:7], off
	;; [unrolled: 1-line block ×3, first 2 shown]
.LBB0_34:
	s_endpgm
	.section	.rodata,"a",@progbits
	.p2align	6, 0x0
	.amdhsa_kernel fft_rtc_fwd_len864_factors_3_6_16_3_wgs_54_tpt_54_halfLds_dp_ip_CI_sbrr_dirReg
		.amdhsa_group_segment_fixed_size 0
		.amdhsa_private_segment_fixed_size 0
		.amdhsa_kernarg_size 88
		.amdhsa_user_sgpr_count 6
		.amdhsa_user_sgpr_private_segment_buffer 1
		.amdhsa_user_sgpr_dispatch_ptr 0
		.amdhsa_user_sgpr_queue_ptr 0
		.amdhsa_user_sgpr_kernarg_segment_ptr 1
		.amdhsa_user_sgpr_dispatch_id 0
		.amdhsa_user_sgpr_flat_scratch_init 0
		.amdhsa_user_sgpr_private_segment_size 0
		.amdhsa_wavefront_size32 1
		.amdhsa_uses_dynamic_stack 0
		.amdhsa_system_sgpr_private_segment_wavefront_offset 0
		.amdhsa_system_sgpr_workgroup_id_x 1
		.amdhsa_system_sgpr_workgroup_id_y 0
		.amdhsa_system_sgpr_workgroup_id_z 0
		.amdhsa_system_sgpr_workgroup_info 0
		.amdhsa_system_vgpr_workitem_id 0
		.amdhsa_next_free_vgpr 194
		.amdhsa_next_free_sgpr 23
		.amdhsa_reserve_vcc 1
		.amdhsa_reserve_flat_scratch 0
		.amdhsa_float_round_mode_32 0
		.amdhsa_float_round_mode_16_64 0
		.amdhsa_float_denorm_mode_32 3
		.amdhsa_float_denorm_mode_16_64 3
		.amdhsa_dx10_clamp 1
		.amdhsa_ieee_mode 1
		.amdhsa_fp16_overflow 0
		.amdhsa_workgroup_processor_mode 1
		.amdhsa_memory_ordered 1
		.amdhsa_forward_progress 0
		.amdhsa_shared_vgpr_count 0
		.amdhsa_exception_fp_ieee_invalid_op 0
		.amdhsa_exception_fp_denorm_src 0
		.amdhsa_exception_fp_ieee_div_zero 0
		.amdhsa_exception_fp_ieee_overflow 0
		.amdhsa_exception_fp_ieee_underflow 0
		.amdhsa_exception_fp_ieee_inexact 0
		.amdhsa_exception_int_div_zero 0
	.end_amdhsa_kernel
	.text
.Lfunc_end0:
	.size	fft_rtc_fwd_len864_factors_3_6_16_3_wgs_54_tpt_54_halfLds_dp_ip_CI_sbrr_dirReg, .Lfunc_end0-fft_rtc_fwd_len864_factors_3_6_16_3_wgs_54_tpt_54_halfLds_dp_ip_CI_sbrr_dirReg
                                        ; -- End function
	.section	.AMDGPU.csdata,"",@progbits
; Kernel info:
; codeLenInByte = 11444
; NumSgprs: 25
; NumVgprs: 194
; ScratchSize: 0
; MemoryBound: 1
; FloatMode: 240
; IeeeMode: 1
; LDSByteSize: 0 bytes/workgroup (compile time only)
; SGPRBlocks: 3
; VGPRBlocks: 24
; NumSGPRsForWavesPerEU: 25
; NumVGPRsForWavesPerEU: 194
; Occupancy: 4
; WaveLimiterHint : 1
; COMPUTE_PGM_RSRC2:SCRATCH_EN: 0
; COMPUTE_PGM_RSRC2:USER_SGPR: 6
; COMPUTE_PGM_RSRC2:TRAP_HANDLER: 0
; COMPUTE_PGM_RSRC2:TGID_X_EN: 1
; COMPUTE_PGM_RSRC2:TGID_Y_EN: 0
; COMPUTE_PGM_RSRC2:TGID_Z_EN: 0
; COMPUTE_PGM_RSRC2:TIDIG_COMP_CNT: 0
	.text
	.p2alignl 6, 3214868480
	.fill 48, 4, 3214868480
	.type	__hip_cuid_ec113486649c3231,@object ; @__hip_cuid_ec113486649c3231
	.section	.bss,"aw",@nobits
	.globl	__hip_cuid_ec113486649c3231
__hip_cuid_ec113486649c3231:
	.byte	0                               ; 0x0
	.size	__hip_cuid_ec113486649c3231, 1

	.ident	"AMD clang version 19.0.0git (https://github.com/RadeonOpenCompute/llvm-project roc-6.4.0 25133 c7fe45cf4b819c5991fe208aaa96edf142730f1d)"
	.section	".note.GNU-stack","",@progbits
	.addrsig
	.addrsig_sym __hip_cuid_ec113486649c3231
	.amdgpu_metadata
---
amdhsa.kernels:
  - .args:
      - .actual_access:  read_only
        .address_space:  global
        .offset:         0
        .size:           8
        .value_kind:     global_buffer
      - .offset:         8
        .size:           8
        .value_kind:     by_value
      - .actual_access:  read_only
        .address_space:  global
        .offset:         16
        .size:           8
        .value_kind:     global_buffer
      - .actual_access:  read_only
        .address_space:  global
        .offset:         24
        .size:           8
        .value_kind:     global_buffer
      - .offset:         32
        .size:           8
        .value_kind:     by_value
      - .actual_access:  read_only
        .address_space:  global
        .offset:         40
        .size:           8
        .value_kind:     global_buffer
      - .actual_access:  read_only
        .address_space:  global
        .offset:         48
        .size:           8
        .value_kind:     global_buffer
      - .offset:         56
        .size:           4
        .value_kind:     by_value
      - .actual_access:  read_only
        .address_space:  global
        .offset:         64
        .size:           8
        .value_kind:     global_buffer
      - .actual_access:  read_only
        .address_space:  global
        .offset:         72
        .size:           8
        .value_kind:     global_buffer
      - .address_space:  global
        .offset:         80
        .size:           8
        .value_kind:     global_buffer
    .group_segment_fixed_size: 0
    .kernarg_segment_align: 8
    .kernarg_segment_size: 88
    .language:       OpenCL C
    .language_version:
      - 2
      - 0
    .max_flat_workgroup_size: 54
    .name:           fft_rtc_fwd_len864_factors_3_6_16_3_wgs_54_tpt_54_halfLds_dp_ip_CI_sbrr_dirReg
    .private_segment_fixed_size: 0
    .sgpr_count:     25
    .sgpr_spill_count: 0
    .symbol:         fft_rtc_fwd_len864_factors_3_6_16_3_wgs_54_tpt_54_halfLds_dp_ip_CI_sbrr_dirReg.kd
    .uniform_work_group_size: 1
    .uses_dynamic_stack: false
    .vgpr_count:     194
    .vgpr_spill_count: 0
    .wavefront_size: 32
    .workgroup_processor_mode: 1
amdhsa.target:   amdgcn-amd-amdhsa--gfx1030
amdhsa.version:
  - 1
  - 2
...

	.end_amdgpu_metadata
